;; amdgpu-corpus repo=ROCm/hip-tests kind=compiled arch=gfx1250 opt=O3
	.amdgcn_target "amdgcn-amd-amdhsa--gfx1250"
	.amdhsa_code_object_version 6
	.text
	.protected	_Z23unsafeAtomicMax_FlatMemPdS_ ; -- Begin function _Z23unsafeAtomicMax_FlatMemPdS_
	.globl	_Z23unsafeAtomicMax_FlatMemPdS_
	.p2align	8
	.type	_Z23unsafeAtomicMax_FlatMemPdS_,@function
_Z23unsafeAtomicMax_FlatMemPdS_:        ; @_Z23unsafeAtomicMax_FlatMemPdS_
; %bb.0:
	v_mov_b64_e32 v[0:1], 0x4014000000000000
	v_mov_b32_e32 v4, 0
	ds_store_b64 v4, v[0:1]
	ds_load_b64 v[0:1], v4
	s_wait_dscnt 0x0
	v_cmp_ngt_f64_e32 vcc_lo, 0x40240000, v[0:1]
	s_cbranch_vccnz .LBB0_4
; %bb.1:
	v_mov_b64_e32 v[2:3], 0x4024000000000000
	s_mov_b32 s3, 0
.LBB0_2:                                ; =>This Inner Loop Header: Depth=1
	ds_cmpstore_rtn_b64 v[6:7], v4, v[2:3], v[0:1]
	s_wait_dscnt 0x0
	v_cmp_eq_u64_e32 vcc_lo, v[6:7], v[0:1]
	v_dual_cndmask_b32 v1, v7, v1 :: v_dual_cndmask_b32 v0, v6, v0
	s_delay_alu instid0(VALU_DEP_1) | instskip(SKIP_1) | instid1(SALU_CYCLE_1)
	v_cmp_ngt_f64_e64 s2, 0x40240000, v[0:1]
	s_or_b32 s2, vcc_lo, s2
	s_and_b32 s2, exec_lo, s2
	s_delay_alu instid0(SALU_CYCLE_1) | instskip(NEXT) | instid1(SALU_CYCLE_1)
	s_or_b32 s3, s2, s3
	s_and_not1_b32 exec_lo, exec_lo, s3
	s_cbranch_execnz .LBB0_2
; %bb.3:
	s_or_b32 exec_lo, exec_lo, s3
	v_mov_b32_e32 v2, 0
	ds_load_b64 v[2:3], v2
	s_branch .LBB0_5
.LBB0_4:
	v_mov_b64_e32 v[2:3], v[0:1]
.LBB0_5:
	s_load_b128 s[0:3], s[0:1], 0x0
	v_mov_b32_e32 v4, 0
	s_wait_kmcnt 0x0
	global_store_b64 v4, v[0:1], s[2:3]
	s_wait_dscnt 0x0
	global_store_b64 v4, v[2:3], s[0:1]
	s_endpgm
	.section	.rodata,"a",@progbits
	.p2align	6, 0x0
	.amdhsa_kernel _Z23unsafeAtomicMax_FlatMemPdS_
		.amdhsa_group_segment_fixed_size 8
		.amdhsa_private_segment_fixed_size 0
		.amdhsa_kernarg_size 16
		.amdhsa_user_sgpr_count 2
		.amdhsa_user_sgpr_dispatch_ptr 0
		.amdhsa_user_sgpr_queue_ptr 0
		.amdhsa_user_sgpr_kernarg_segment_ptr 1
		.amdhsa_user_sgpr_dispatch_id 0
		.amdhsa_user_sgpr_kernarg_preload_length 0
		.amdhsa_user_sgpr_kernarg_preload_offset 0
		.amdhsa_user_sgpr_private_segment_size 0
		.amdhsa_wavefront_size32 1
		.amdhsa_uses_dynamic_stack 0
		.amdhsa_enable_private_segment 0
		.amdhsa_system_sgpr_workgroup_id_x 1
		.amdhsa_system_sgpr_workgroup_id_y 0
		.amdhsa_system_sgpr_workgroup_id_z 0
		.amdhsa_system_sgpr_workgroup_info 0
		.amdhsa_system_vgpr_workitem_id 0
		.amdhsa_next_free_vgpr 8
		.amdhsa_next_free_sgpr 4
		.amdhsa_named_barrier_count 0
		.amdhsa_reserve_vcc 1
		.amdhsa_float_round_mode_32 0
		.amdhsa_float_round_mode_16_64 0
		.amdhsa_float_denorm_mode_32 3
		.amdhsa_float_denorm_mode_16_64 3
		.amdhsa_fp16_overflow 0
		.amdhsa_memory_ordered 1
		.amdhsa_forward_progress 1
		.amdhsa_inst_pref_size 2
		.amdhsa_round_robin_scheduling 0
		.amdhsa_exception_fp_ieee_invalid_op 0
		.amdhsa_exception_fp_denorm_src 0
		.amdhsa_exception_fp_ieee_div_zero 0
		.amdhsa_exception_fp_ieee_overflow 0
		.amdhsa_exception_fp_ieee_underflow 0
		.amdhsa_exception_fp_ieee_inexact 0
		.amdhsa_exception_int_div_zero 0
	.end_amdhsa_kernel
	.text
.Lfunc_end0:
	.size	_Z23unsafeAtomicMax_FlatMemPdS_, .Lfunc_end0-_Z23unsafeAtomicMax_FlatMemPdS_
                                        ; -- End function
	.set _Z23unsafeAtomicMax_FlatMemPdS_.num_vgpr, 8
	.set _Z23unsafeAtomicMax_FlatMemPdS_.num_agpr, 0
	.set _Z23unsafeAtomicMax_FlatMemPdS_.numbered_sgpr, 4
	.set _Z23unsafeAtomicMax_FlatMemPdS_.num_named_barrier, 0
	.set _Z23unsafeAtomicMax_FlatMemPdS_.private_seg_size, 0
	.set _Z23unsafeAtomicMax_FlatMemPdS_.uses_vcc, 1
	.set _Z23unsafeAtomicMax_FlatMemPdS_.uses_flat_scratch, 0
	.set _Z23unsafeAtomicMax_FlatMemPdS_.has_dyn_sized_stack, 0
	.set _Z23unsafeAtomicMax_FlatMemPdS_.has_recursion, 0
	.set _Z23unsafeAtomicMax_FlatMemPdS_.has_indirect_call, 0
	.section	.AMDGPU.csdata,"",@progbits
; Kernel info:
; codeLenInByte = 200
; TotalNumSgprs: 6
; NumVgprs: 8
; ScratchSize: 0
; MemoryBound: 0
; FloatMode: 240
; IeeeMode: 1
; LDSByteSize: 8 bytes/workgroup (compile time only)
; SGPRBlocks: 0
; VGPRBlocks: 0
; NumSGPRsForWavesPerEU: 6
; NumVGPRsForWavesPerEU: 8
; NamedBarCnt: 0
; Occupancy: 16
; WaveLimiterHint : 0
; COMPUTE_PGM_RSRC2:SCRATCH_EN: 0
; COMPUTE_PGM_RSRC2:USER_SGPR: 2
; COMPUTE_PGM_RSRC2:TRAP_HANDLER: 0
; COMPUTE_PGM_RSRC2:TGID_X_EN: 1
; COMPUTE_PGM_RSRC2:TGID_Y_EN: 0
; COMPUTE_PGM_RSRC2:TGID_Z_EN: 0
; COMPUTE_PGM_RSRC2:TIDIG_COMP_CNT: 0
	.text
	.protected	_Z25unsafeAtomicMax_GlobalMemPdS_ ; -- Begin function _Z25unsafeAtomicMax_GlobalMemPdS_
	.globl	_Z25unsafeAtomicMax_GlobalMemPdS_
	.p2align	8
	.type	_Z25unsafeAtomicMax_GlobalMemPdS_,@function
_Z25unsafeAtomicMax_GlobalMemPdS_:      ; @_Z25unsafeAtomicMax_GlobalMemPdS_
; %bb.0:
	s_load_b128 s[4:7], s[0:1], 0x0
	v_mov_b32_e32 v0, 0
	s_wait_kmcnt 0x0
	global_load_b64 v[2:3], v0, s[4:5] scope:SCOPE_DEV
	s_wait_loadcnt 0x0
	v_cmp_ngt_f64_e32 vcc_lo, 0x40240000, v[2:3]
	s_cbranch_vccnz .LBB1_4
; %bb.1:
	v_mov_b32_e32 v1, 0x40240000
	s_mov_b32 s1, 0
.LBB1_2:                                ; =>This Inner Loop Header: Depth=1
	global_atomic_cmpswap_b64 v[4:5], v0, v[0:3], s[4:5] th:TH_ATOMIC_RETURN scope:SCOPE_DEV
	s_wait_loadcnt 0x0
	v_cmp_eq_u64_e32 vcc_lo, v[4:5], v[2:3]
	v_dual_cndmask_b32 v3, v5, v3 :: v_dual_cndmask_b32 v2, v4, v2
	s_delay_alu instid0(VALU_DEP_1) | instskip(SKIP_1) | instid1(SALU_CYCLE_1)
	v_cmp_ngt_f64_e64 s0, 0x40240000, v[2:3]
	s_or_b32 s0, vcc_lo, s0
	s_and_b32 s0, exec_lo, s0
	s_delay_alu instid0(SALU_CYCLE_1) | instskip(NEXT) | instid1(SALU_CYCLE_1)
	s_or_b32 s1, s0, s1
	s_and_not1_b32 exec_lo, exec_lo, s1
	s_cbranch_execnz .LBB1_2
; %bb.3:
	s_or_b32 exec_lo, exec_lo, s1
.LBB1_4:
	v_mov_b32_e32 v0, 0
	global_store_b64 v0, v[2:3], s[6:7]
	s_endpgm
	.section	.rodata,"a",@progbits
	.p2align	6, 0x0
	.amdhsa_kernel _Z25unsafeAtomicMax_GlobalMemPdS_
		.amdhsa_group_segment_fixed_size 0
		.amdhsa_private_segment_fixed_size 0
		.amdhsa_kernarg_size 16
		.amdhsa_user_sgpr_count 2
		.amdhsa_user_sgpr_dispatch_ptr 0
		.amdhsa_user_sgpr_queue_ptr 0
		.amdhsa_user_sgpr_kernarg_segment_ptr 1
		.amdhsa_user_sgpr_dispatch_id 0
		.amdhsa_user_sgpr_kernarg_preload_length 0
		.amdhsa_user_sgpr_kernarg_preload_offset 0
		.amdhsa_user_sgpr_private_segment_size 0
		.amdhsa_wavefront_size32 1
		.amdhsa_uses_dynamic_stack 0
		.amdhsa_enable_private_segment 0
		.amdhsa_system_sgpr_workgroup_id_x 1
		.amdhsa_system_sgpr_workgroup_id_y 0
		.amdhsa_system_sgpr_workgroup_id_z 0
		.amdhsa_system_sgpr_workgroup_info 0
		.amdhsa_system_vgpr_workitem_id 0
		.amdhsa_next_free_vgpr 6
		.amdhsa_next_free_sgpr 8
		.amdhsa_named_barrier_count 0
		.amdhsa_reserve_vcc 1
		.amdhsa_float_round_mode_32 0
		.amdhsa_float_round_mode_16_64 0
		.amdhsa_float_denorm_mode_32 3
		.amdhsa_float_denorm_mode_16_64 3
		.amdhsa_fp16_overflow 0
		.amdhsa_memory_ordered 1
		.amdhsa_forward_progress 1
		.amdhsa_inst_pref_size 2
		.amdhsa_round_robin_scheduling 0
		.amdhsa_exception_fp_ieee_invalid_op 0
		.amdhsa_exception_fp_denorm_src 0
		.amdhsa_exception_fp_ieee_div_zero 0
		.amdhsa_exception_fp_ieee_overflow 0
		.amdhsa_exception_fp_ieee_underflow 0
		.amdhsa_exception_fp_ieee_inexact 0
		.amdhsa_exception_int_div_zero 0
	.end_amdhsa_kernel
	.text
.Lfunc_end1:
	.size	_Z25unsafeAtomicMax_GlobalMemPdS_, .Lfunc_end1-_Z25unsafeAtomicMax_GlobalMemPdS_
                                        ; -- End function
	.set _Z25unsafeAtomicMax_GlobalMemPdS_.num_vgpr, 6
	.set _Z25unsafeAtomicMax_GlobalMemPdS_.num_agpr, 0
	.set _Z25unsafeAtomicMax_GlobalMemPdS_.numbered_sgpr, 8
	.set _Z25unsafeAtomicMax_GlobalMemPdS_.num_named_barrier, 0
	.set _Z25unsafeAtomicMax_GlobalMemPdS_.private_seg_size, 0
	.set _Z25unsafeAtomicMax_GlobalMemPdS_.uses_vcc, 1
	.set _Z25unsafeAtomicMax_GlobalMemPdS_.uses_flat_scratch, 0
	.set _Z25unsafeAtomicMax_GlobalMemPdS_.has_dyn_sized_stack, 0
	.set _Z25unsafeAtomicMax_GlobalMemPdS_.has_recursion, 0
	.set _Z25unsafeAtomicMax_GlobalMemPdS_.has_indirect_call, 0
	.section	.AMDGPU.csdata,"",@progbits
; Kernel info:
; codeLenInByte = 148
; TotalNumSgprs: 10
; NumVgprs: 6
; ScratchSize: 0
; MemoryBound: 0
; FloatMode: 240
; IeeeMode: 1
; LDSByteSize: 0 bytes/workgroup (compile time only)
; SGPRBlocks: 0
; VGPRBlocks: 0
; NumSGPRsForWavesPerEU: 10
; NumVGPRsForWavesPerEU: 6
; NamedBarCnt: 0
; Occupancy: 16
; WaveLimiterHint : 0
; COMPUTE_PGM_RSRC2:SCRATCH_EN: 0
; COMPUTE_PGM_RSRC2:USER_SGPR: 2
; COMPUTE_PGM_RSRC2:TRAP_HANDLER: 0
; COMPUTE_PGM_RSRC2:TGID_X_EN: 1
; COMPUTE_PGM_RSRC2:TGID_Y_EN: 0
; COMPUTE_PGM_RSRC2:TGID_Z_EN: 0
; COMPUTE_PGM_RSRC2:TIDIG_COMP_CNT: 0
	.text
	.p2alignl 7, 3214868480
	.fill 96, 4, 3214868480
	.section	.AMDGPU.gpr_maximums,"",@progbits
	.set amdgpu.max_num_vgpr, 0
	.set amdgpu.max_num_agpr, 0
	.set amdgpu.max_num_sgpr, 0
	.text
	.type	__hip_cuid_62537fa29ad9f2d7,@object ; @__hip_cuid_62537fa29ad9f2d7
	.section	.bss,"aw",@nobits
	.globl	__hip_cuid_62537fa29ad9f2d7
__hip_cuid_62537fa29ad9f2d7:
	.byte	0                               ; 0x0
	.size	__hip_cuid_62537fa29ad9f2d7, 1

	.ident	"AMD clang version 22.0.0git (https://github.com/RadeonOpenCompute/llvm-project roc-7.2.4 26084 f58b06dce1f9c15707c5f808fd002e18c2accf7e)"
	.section	".note.GNU-stack","",@progbits
	.addrsig
	.addrsig_sym __hip_cuid_62537fa29ad9f2d7
	.amdgpu_metadata
---
amdhsa.kernels:
  - .args:
      - .address_space:  global
        .offset:         0
        .size:           8
        .value_kind:     global_buffer
      - .address_space:  global
        .offset:         8
        .size:           8
        .value_kind:     global_buffer
    .group_segment_fixed_size: 8
    .kernarg_segment_align: 8
    .kernarg_segment_size: 16
    .language:       OpenCL C
    .language_version:
      - 2
      - 0
    .max_flat_workgroup_size: 1024
    .name:           _Z23unsafeAtomicMax_FlatMemPdS_
    .private_segment_fixed_size: 0
    .sgpr_count:     6
    .sgpr_spill_count: 0
    .symbol:         _Z23unsafeAtomicMax_FlatMemPdS_.kd
    .uniform_work_group_size: 1
    .uses_dynamic_stack: false
    .vgpr_count:     8
    .vgpr_spill_count: 0
    .wavefront_size: 32
  - .args:
      - .address_space:  global
        .offset:         0
        .size:           8
        .value_kind:     global_buffer
      - .address_space:  global
        .offset:         8
        .size:           8
        .value_kind:     global_buffer
    .group_segment_fixed_size: 0
    .kernarg_segment_align: 8
    .kernarg_segment_size: 16
    .language:       OpenCL C
    .language_version:
      - 2
      - 0
    .max_flat_workgroup_size: 1024
    .name:           _Z25unsafeAtomicMax_GlobalMemPdS_
    .private_segment_fixed_size: 0
    .sgpr_count:     10
    .sgpr_spill_count: 0
    .symbol:         _Z25unsafeAtomicMax_GlobalMemPdS_.kd
    .uniform_work_group_size: 1
    .uses_dynamic_stack: false
    .vgpr_count:     6
    .vgpr_spill_count: 0
    .wavefront_size: 32
amdhsa.target:   amdgcn-amd-amdhsa--gfx1250
amdhsa.version:
  - 1
  - 2
...

	.end_amdgpu_metadata
